;; amdgpu-corpus repo=ROCm/rocFFT kind=compiled arch=gfx950 opt=O3
	.text
	.amdgcn_target "amdgcn-amd-amdhsa--gfx950"
	.amdhsa_code_object_version 6
	.protected	fft_rtc_fwd_len275_factors_11_5_5_wgs_55_tpt_55_dp_op_CI_CI_unitstride_sbrr_dirReg ; -- Begin function fft_rtc_fwd_len275_factors_11_5_5_wgs_55_tpt_55_dp_op_CI_CI_unitstride_sbrr_dirReg
	.globl	fft_rtc_fwd_len275_factors_11_5_5_wgs_55_tpt_55_dp_op_CI_CI_unitstride_sbrr_dirReg
	.p2align	8
	.type	fft_rtc_fwd_len275_factors_11_5_5_wgs_55_tpt_55_dp_op_CI_CI_unitstride_sbrr_dirReg,@function
fft_rtc_fwd_len275_factors_11_5_5_wgs_55_tpt_55_dp_op_CI_CI_unitstride_sbrr_dirReg: ; @fft_rtc_fwd_len275_factors_11_5_5_wgs_55_tpt_55_dp_op_CI_CI_unitstride_sbrr_dirReg
; %bb.0:
	s_load_dwordx4 s[4:7], s[0:1], 0x58
	s_load_dwordx4 s[8:11], s[0:1], 0x0
	;; [unrolled: 1-line block ×3, first 2 shown]
	v_mul_u32_u24_e32 v1, 0x4a8, v0
	v_add_u32_sdwa v4, s2, v1 dst_sel:DWORD dst_unused:UNUSED_PAD src0_sel:DWORD src1_sel:WORD_1
	v_mov_b32_e32 v2, 0
	s_waitcnt lgkmcnt(0)
	v_cmp_lt_u64_e64 s[2:3], s[10:11], 2
	v_mov_b32_e32 v5, v2
	s_and_b64 vcc, exec, s[2:3]
	v_mov_b64_e32 v[44:45], 0
	s_cbranch_vccnz .LBB0_8
; %bb.1:
	s_load_dwordx2 s[2:3], s[0:1], 0x10
	s_add_u32 s16, s14, 8
	s_addc_u32 s17, s15, 0
	s_add_u32 s18, s12, 8
	s_addc_u32 s19, s13, 0
	s_waitcnt lgkmcnt(0)
	s_add_u32 s20, s2, 8
	v_mov_b64_e32 v[44:45], 0
	s_addc_u32 s21, s3, 0
	s_mov_b64 s[22:23], 1
	v_mov_b64_e32 v[64:65], v[44:45]
.LBB0_2:                                ; =>This Inner Loop Header: Depth=1
	s_load_dwordx2 s[24:25], s[20:21], 0x0
                                        ; implicit-def: $vgpr66_vgpr67
	s_waitcnt lgkmcnt(0)
	v_or_b32_e32 v3, s25, v5
	v_cmp_ne_u64_e32 vcc, 0, v[2:3]
	s_and_saveexec_b64 s[2:3], vcc
	s_xor_b64 s[26:27], exec, s[2:3]
	s_cbranch_execz .LBB0_4
; %bb.3:                                ;   in Loop: Header=BB0_2 Depth=1
	v_cvt_f32_u32_e32 v1, s24
	v_cvt_f32_u32_e32 v3, s25
	s_sub_u32 s2, 0, s24
	s_subb_u32 s3, 0, s25
	v_fmac_f32_e32 v1, 0x4f800000, v3
	v_rcp_f32_e32 v1, v1
	s_nop 0
	v_mul_f32_e32 v1, 0x5f7ffffc, v1
	v_mul_f32_e32 v3, 0x2f800000, v1
	v_trunc_f32_e32 v3, v3
	v_fmac_f32_e32 v1, 0xcf800000, v3
	v_cvt_u32_f32_e32 v3, v3
	v_cvt_u32_f32_e32 v1, v1
	v_mul_lo_u32 v6, s2, v3
	v_mul_hi_u32 v8, s2, v1
	v_mul_lo_u32 v7, s3, v1
	v_add_u32_e32 v8, v8, v6
	v_mul_lo_u32 v10, s2, v1
	v_add_u32_e32 v11, v8, v7
	v_mul_hi_u32 v6, v1, v10
	v_mul_hi_u32 v9, v1, v11
	v_mul_lo_u32 v8, v1, v11
	v_mov_b32_e32 v7, v2
	v_lshl_add_u64 v[6:7], v[6:7], 0, v[8:9]
	v_mul_hi_u32 v9, v3, v10
	v_mul_lo_u32 v10, v3, v10
	v_add_co_u32_e32 v6, vcc, v6, v10
	v_mul_hi_u32 v8, v3, v11
	s_nop 0
	v_addc_co_u32_e32 v6, vcc, v7, v9, vcc
	v_mov_b32_e32 v7, v2
	s_nop 0
	v_addc_co_u32_e32 v9, vcc, 0, v8, vcc
	v_mul_lo_u32 v8, v3, v11
	v_lshl_add_u64 v[6:7], v[6:7], 0, v[8:9]
	v_add_co_u32_e32 v1, vcc, v1, v6
	v_mul_lo_u32 v8, s2, v1
	s_nop 0
	v_addc_co_u32_e32 v3, vcc, v3, v7, vcc
	v_mul_lo_u32 v6, s2, v3
	v_mul_hi_u32 v7, s2, v1
	v_add_u32_e32 v6, v7, v6
	v_mul_lo_u32 v7, s3, v1
	v_add_u32_e32 v10, v6, v7
	v_mul_hi_u32 v12, v3, v8
	v_mul_lo_u32 v13, v3, v8
	v_mul_hi_u32 v7, v1, v10
	v_mul_lo_u32 v6, v1, v10
	v_mul_hi_u32 v8, v1, v8
	v_mov_b32_e32 v9, v2
	v_lshl_add_u64 v[6:7], v[8:9], 0, v[6:7]
	v_add_co_u32_e32 v6, vcc, v6, v13
	v_mul_hi_u32 v11, v3, v10
	s_nop 0
	v_addc_co_u32_e32 v6, vcc, v7, v12, vcc
	v_mul_lo_u32 v8, v3, v10
	s_nop 0
	v_addc_co_u32_e32 v9, vcc, 0, v11, vcc
	v_mov_b32_e32 v7, v2
	v_lshl_add_u64 v[6:7], v[6:7], 0, v[8:9]
	v_add_co_u32_e32 v1, vcc, v1, v6
	v_mul_hi_u32 v8, v4, v1
	s_nop 0
	v_addc_co_u32_e32 v3, vcc, v3, v7, vcc
	v_mad_u64_u32 v[6:7], s[2:3], v4, v3, 0
	v_mov_b32_e32 v9, v2
	v_lshl_add_u64 v[6:7], v[8:9], 0, v[6:7]
	v_mad_u64_u32 v[10:11], s[2:3], v5, v1, 0
	v_add_co_u32_e32 v1, vcc, v6, v10
	v_mad_u64_u32 v[8:9], s[2:3], v5, v3, 0
	s_nop 0
	v_addc_co_u32_e32 v6, vcc, v7, v11, vcc
	v_mov_b32_e32 v7, v2
	s_nop 0
	v_addc_co_u32_e32 v9, vcc, 0, v9, vcc
	v_lshl_add_u64 v[6:7], v[6:7], 0, v[8:9]
	v_mul_lo_u32 v1, s25, v6
	v_mul_lo_u32 v3, s24, v7
	v_mad_u64_u32 v[8:9], s[2:3], s24, v6, 0
	v_add3_u32 v1, v9, v3, v1
	v_sub_u32_e32 v3, v5, v1
	v_mov_b32_e32 v9, s25
	v_sub_co_u32_e32 v12, vcc, v4, v8
	v_lshl_add_u64 v[10:11], v[6:7], 0, 1
	s_nop 0
	v_subb_co_u32_e64 v3, s[2:3], v3, v9, vcc
	v_subrev_co_u32_e64 v8, s[2:3], s24, v12
	v_subb_co_u32_e32 v1, vcc, v5, v1, vcc
	s_nop 0
	v_subbrev_co_u32_e64 v3, s[2:3], 0, v3, s[2:3]
	v_cmp_le_u32_e64 s[2:3], s25, v3
	v_cmp_le_u32_e32 vcc, s25, v1
	s_nop 0
	v_cndmask_b32_e64 v9, 0, -1, s[2:3]
	v_cmp_le_u32_e64 s[2:3], s24, v8
	s_nop 1
	v_cndmask_b32_e64 v8, 0, -1, s[2:3]
	v_cmp_eq_u32_e64 s[2:3], s25, v3
	s_nop 1
	v_cndmask_b32_e64 v3, v9, v8, s[2:3]
	v_lshl_add_u64 v[8:9], v[6:7], 0, 2
	v_cmp_ne_u32_e64 s[2:3], 0, v3
	s_nop 1
	v_cndmask_b32_e64 v3, v11, v9, s[2:3]
	v_cndmask_b32_e64 v9, 0, -1, vcc
	v_cmp_le_u32_e32 vcc, s24, v12
	s_nop 1
	v_cndmask_b32_e64 v11, 0, -1, vcc
	v_cmp_eq_u32_e32 vcc, s25, v1
	s_nop 1
	v_cndmask_b32_e32 v1, v9, v11, vcc
	v_cmp_ne_u32_e32 vcc, 0, v1
	v_cndmask_b32_e64 v1, v10, v8, s[2:3]
	s_nop 0
	v_cndmask_b32_e32 v67, v7, v3, vcc
	v_cndmask_b32_e32 v66, v6, v1, vcc
.LBB0_4:                                ;   in Loop: Header=BB0_2 Depth=1
	s_andn2_saveexec_b64 s[2:3], s[26:27]
	s_cbranch_execz .LBB0_6
; %bb.5:                                ;   in Loop: Header=BB0_2 Depth=1
	v_cvt_f32_u32_e32 v1, s24
	s_sub_i32 s26, 0, s24
	v_mov_b32_e32 v67, v2
	v_rcp_iflag_f32_e32 v1, v1
	s_nop 0
	v_mul_f32_e32 v1, 0x4f7ffffe, v1
	v_cvt_u32_f32_e32 v1, v1
	v_mul_lo_u32 v3, s26, v1
	v_mul_hi_u32 v3, v1, v3
	v_add_u32_e32 v1, v1, v3
	v_mul_hi_u32 v1, v4, v1
	v_mul_lo_u32 v3, v1, s24
	v_sub_u32_e32 v3, v4, v3
	v_add_u32_e32 v6, 1, v1
	v_subrev_u32_e32 v7, s24, v3
	v_cmp_le_u32_e32 vcc, s24, v3
	s_nop 1
	v_cndmask_b32_e32 v3, v3, v7, vcc
	v_cndmask_b32_e32 v1, v1, v6, vcc
	v_add_u32_e32 v6, 1, v1
	v_cmp_le_u32_e32 vcc, s24, v3
	s_nop 1
	v_cndmask_b32_e32 v66, v1, v6, vcc
.LBB0_6:                                ;   in Loop: Header=BB0_2 Depth=1
	s_or_b64 exec, exec, s[2:3]
	v_mad_u64_u32 v[6:7], s[2:3], v66, s24, 0
	s_load_dwordx2 s[2:3], s[18:19], 0x0
	v_mul_lo_u32 v1, v67, s24
	v_mul_lo_u32 v3, v66, s25
	s_load_dwordx2 s[24:25], s[16:17], 0x0
	s_add_u32 s22, s22, 1
	v_add3_u32 v1, v7, v3, v1
	v_sub_co_u32_e32 v3, vcc, v4, v6
	s_addc_u32 s23, s23, 0
	s_nop 0
	v_subb_co_u32_e32 v1, vcc, v5, v1, vcc
	s_add_u32 s16, s16, 8
	s_waitcnt lgkmcnt(0)
	v_mul_lo_u32 v4, s2, v1
	v_mul_lo_u32 v5, s3, v3
	v_mad_u64_u32 v[44:45], s[2:3], s2, v3, v[44:45]
	s_addc_u32 s17, s17, 0
	v_add3_u32 v45, v5, v45, v4
	v_mul_lo_u32 v1, s24, v1
	v_mul_lo_u32 v4, s25, v3
	v_mad_u64_u32 v[64:65], s[2:3], s24, v3, v[64:65]
	s_add_u32 s18, s18, 8
	v_add3_u32 v65, v4, v65, v1
	s_addc_u32 s19, s19, 0
	v_mov_b64_e32 v[4:5], s[10:11]
	s_add_u32 s20, s20, 8
	v_cmp_ge_u64_e32 vcc, s[22:23], v[4:5]
	s_addc_u32 s21, s21, 0
	s_cbranch_vccnz .LBB0_9
; %bb.7:                                ;   in Loop: Header=BB0_2 Depth=1
	v_mov_b64_e32 v[4:5], v[66:67]
	s_branch .LBB0_2
.LBB0_8:
	v_mov_b64_e32 v[64:65], v[44:45]
	v_mov_b64_e32 v[66:67], v[4:5]
.LBB0_9:
	s_load_dwordx2 s[0:1], s[0:1], 0x28
	s_lshl_b64 s[16:17], s[10:11], 3
	s_add_u32 s2, s14, s16
	s_addc_u32 s3, s15, s17
	s_load_dwordx2 s[2:3], s[2:3], 0x0
	s_waitcnt lgkmcnt(0)
	v_cmp_gt_u64_e32 vcc, s[0:1], v[66:67]
	s_mov_b32 s0, 0x4a7904b
	v_mul_hi_u32 v1, v0, s0
	v_mul_u32_u24_e32 v1, 55, v1
	v_sub_u32_e32 v70, v0, v1
	v_mov_b32_e32 v68, 0
                                        ; implicit-def: $vgpr42_vgpr43
                                        ; implicit-def: $vgpr38_vgpr39
                                        ; implicit-def: $vgpr34_vgpr35
                                        ; implicit-def: $vgpr30_vgpr31
                                        ; implicit-def: $vgpr26_vgpr27
                                        ; implicit-def: $vgpr22_vgpr23
                                        ; implicit-def: $vgpr18_vgpr19
                                        ; implicit-def: $vgpr14_vgpr15
                                        ; implicit-def: $vgpr6_vgpr7
                                        ; implicit-def: $vgpr10_vgpr11
                                        ; implicit-def: $vgpr2_vgpr3
	s_and_saveexec_b64 s[10:11], vcc
	s_cbranch_execz .LBB0_13
; %bb.10:
	v_cmp_gt_u32_e64 s[0:1], 25, v70
                                        ; implicit-def: $vgpr0_vgpr1
                                        ; implicit-def: $vgpr8_vgpr9
                                        ; implicit-def: $vgpr4_vgpr5
                                        ; implicit-def: $vgpr12_vgpr13
                                        ; implicit-def: $vgpr16_vgpr17
                                        ; implicit-def: $vgpr20_vgpr21
                                        ; implicit-def: $vgpr24_vgpr25
                                        ; implicit-def: $vgpr28_vgpr29
                                        ; implicit-def: $vgpr32_vgpr33
                                        ; implicit-def: $vgpr36_vgpr37
                                        ; implicit-def: $vgpr40_vgpr41
	s_and_saveexec_b64 s[14:15], s[0:1]
	s_cbranch_execz .LBB0_12
; %bb.11:
	s_add_u32 s0, s12, s16
	s_addc_u32 s1, s13, s17
	s_load_dwordx2 s[0:1], s[0:1], 0x0
	v_mov_b32_e32 v71, 0
	s_waitcnt lgkmcnt(0)
	v_mul_lo_u32 v2, s1, v66
	v_mul_lo_u32 v3, s0, v67
	v_mad_u64_u32 v[0:1], s[0:1], s0, v66, 0
	v_add3_u32 v1, v1, v3, v2
	v_lshl_add_u64 v[0:1], v[0:1], 4, s[4:5]
	v_lshl_add_u64 v[0:1], v[44:45], 4, v[0:1]
	;; [unrolled: 1-line block ×3, first 2 shown]
	global_load_dwordx4 v[0:3], v[44:45], off
	global_load_dwordx4 v[8:11], v[44:45], off offset:400
	global_load_dwordx4 v[4:7], v[44:45], off offset:800
	global_load_dwordx4 v[12:15], v[44:45], off offset:1200
	global_load_dwordx4 v[16:19], v[44:45], off offset:1600
	global_load_dwordx4 v[20:23], v[44:45], off offset:2000
	global_load_dwordx4 v[24:27], v[44:45], off offset:2400
	global_load_dwordx4 v[28:31], v[44:45], off offset:2800
	global_load_dwordx4 v[32:35], v[44:45], off offset:3200
	global_load_dwordx4 v[36:39], v[44:45], off offset:3600
	global_load_dwordx4 v[40:43], v[44:45], off offset:4000
.LBB0_12:
	s_or_b64 exec, exec, s[14:15]
	v_mov_b32_e32 v68, v70
.LBB0_13:
	s_or_b64 exec, exec, s[10:11]
	v_cmp_gt_u32_e64 s[0:1], 25, v70
	s_and_saveexec_b64 s[4:5], s[0:1]
	s_cbranch_execz .LBB0_15
; %bb.14:
	s_mov_b32 s16, 0xfd768dbf
	s_mov_b32 s24, 0xf8bb580b
	s_waitcnt vmcnt(0)
	v_add_f64 v[94:95], v[8:9], -v[40:41]
	s_mov_b32 s17, 0xbfd207e7
	s_mov_b32 s0, 0x9bcd5057
	v_add_f64 v[90:91], v[4:5], -v[36:37]
	s_mov_b32 s25, 0x3fe14ced
	s_mov_b32 s14, 0x8764f0ba
	v_add_f64 v[78:79], v[42:43], v[10:11]
	v_mul_f64 v[50:51], v[94:95], s[16:17]
	s_mov_b32 s1, 0xbfeeb42a
	s_mov_b32 s20, 0xbb3a28a1
	v_add_f64 v[72:73], v[38:39], v[6:7]
	v_mul_f64 v[48:49], v[90:91], s[24:25]
	s_mov_b32 s15, 0x3feaeb8c
	v_fma_f64 v[44:45], v[78:79], s[0:1], -v[50:51]
	s_mov_b32 s21, 0xbfe82f19
	s_mov_b32 s10, 0x7f775887
	v_add_f64 v[96:97], v[12:13], -v[32:33]
	v_add_f64 v[44:45], v[2:3], v[44:45]
	v_fma_f64 v[46:47], v[72:73], s[14:15], -v[48:49]
	s_mov_b32 s11, 0xbfe4f49e
	v_add_f64 v[74:75], v[34:35], v[14:15]
	v_mul_f64 v[52:53], v[96:97], s[20:21]
	s_mov_b32 s23, 0x3fed1bb4
	s_mov_b32 s22, 0x8eee2c13
	;; [unrolled: 1-line block ×3, first 2 shown]
	v_add_f64 v[98:99], v[16:17], -v[28:29]
	v_add_f64 v[44:45], v[46:47], v[44:45]
	v_fma_f64 v[46:47], v[74:75], s[10:11], -v[52:53]
	s_mov_b32 s13, 0x3fda9628
	v_add_f64 v[76:77], v[30:31], v[18:19]
	v_mul_f64 v[54:55], v[98:99], s[22:23]
	v_add_f64 v[100:101], v[10:11], -v[42:43]
	v_add_f64 v[44:45], v[46:47], v[44:45]
	v_fma_f64 v[46:47], v[76:77], s[12:13], -v[54:55]
	v_add_f64 v[92:93], v[40:41], v[8:9]
	v_mul_f64 v[56:57], v[100:101], s[16:17]
	v_add_f64 v[106:107], v[6:7], -v[38:39]
	v_add_f64 v[44:45], v[46:47], v[44:45]
	v_fma_f64 v[46:47], s[0:1], v[92:93], v[56:57]
	v_add_f64 v[80:81], v[36:37], v[4:5]
	v_mul_f64 v[58:59], v[106:107], s[24:25]
	v_fmac_f64_e32 v[50:51], s[0:1], v[78:79]
	v_add_f64 v[46:47], v[0:1], v[46:47]
	v_fma_f64 v[60:61], s[14:15], v[80:81], v[58:59]
	v_add_f64 v[102:103], v[14:15], -v[34:35]
	v_fmac_f64_e32 v[48:49], s[14:15], v[72:73]
	v_add_f64 v[50:51], v[2:3], v[50:51]
	v_add_f64 v[46:47], v[60:61], v[46:47]
	;; [unrolled: 1-line block ×3, first 2 shown]
	v_mul_f64 v[60:61], v[102:103], s[20:21]
	v_add_f64 v[48:49], v[48:49], v[50:51]
	v_fmac_f64_e32 v[52:53], s[10:11], v[74:75]
	v_fma_f64 v[62:63], s[10:11], v[82:83], v[60:61]
	v_add_f64 v[104:105], v[18:19], -v[30:31]
	s_mov_b32 s26, 0x43842ef
	v_add_f64 v[48:49], v[52:53], v[48:49]
	v_fma_f64 v[52:53], v[92:93], s[0:1], -v[56:57]
	v_add_f64 v[46:47], v[62:63], v[46:47]
	v_add_f64 v[84:85], v[28:29], v[16:17]
	v_mul_f64 v[62:63], v[104:105], s[22:23]
	s_mov_b32 s27, 0xbfefac9e
	s_mov_b32 s18, 0x640f44db
	v_add_f64 v[108:109], v[20:21], -v[24:25]
	v_fma_f64 v[50:51], v[80:81], s[14:15], -v[58:59]
	v_add_f64 v[52:53], v[0:1], v[52:53]
	v_fma_f64 v[86:87], s[12:13], v[84:85], v[62:63]
	s_mov_b32 s19, 0xbfc2375f
	v_add_f64 v[88:89], v[26:27], v[22:23]
	v_mul_f64 v[114:115], v[108:109], s[26:27]
	v_add_f64 v[110:111], v[22:23], -v[26:27]
	v_fmac_f64_e32 v[54:55], s[12:13], v[76:77]
	v_add_f64 v[50:51], v[50:51], v[52:53]
	v_fma_f64 v[52:53], v[82:83], s[10:11], -v[60:61]
	v_add_f64 v[112:113], v[86:87], v[46:47]
	v_fma_f64 v[46:47], v[88:89], s[18:19], -v[114:115]
	v_add_f64 v[86:87], v[24:25], v[20:21]
	v_mul_f64 v[116:117], v[110:111], s[26:27]
	v_add_f64 v[48:49], v[54:55], v[48:49]
	v_add_f64 v[50:51], v[52:53], v[50:51]
	v_fma_f64 v[52:53], v[84:85], s[12:13], -v[62:63]
	v_fmac_f64_e32 v[114:115], s[18:19], v[88:89]
	v_add_f64 v[52:53], v[52:53], v[50:51]
	v_add_f64 v[50:51], v[114:115], v[48:49]
	v_fma_f64 v[48:49], v[86:87], s[18:19], -v[116:117]
	s_mov_b32 s31, 0x3fefac9e
	s_mov_b32 s30, s26
	v_mul_f64 v[56:57], v[94:95], s[20:21]
	v_add_f64 v[48:49], v[48:49], v[52:53]
	v_fma_f64 v[52:53], v[78:79], s[10:11], -v[56:57]
	v_mul_f64 v[58:59], v[90:91], s[30:31]
	s_mov_b32 s29, 0xbfe14ced
	s_mov_b32 s28, s24
	v_add_f64 v[52:53], v[2:3], v[52:53]
	v_fma_f64 v[54:55], v[72:73], s[18:19], -v[58:59]
	v_mul_f64 v[60:61], v[96:97], s[28:29]
	v_add_f64 v[46:47], v[46:47], v[44:45]
	v_fma_f64 v[44:45], s[18:19], v[86:87], v[116:117]
	v_add_f64 v[52:53], v[54:55], v[52:53]
	v_fma_f64 v[54:55], v[74:75], s[14:15], -v[60:61]
	v_mul_f64 v[62:63], v[98:99], s[16:17]
	v_add_f64 v[44:45], v[44:45], v[112:113]
	v_add_f64 v[52:53], v[54:55], v[52:53]
	v_fma_f64 v[54:55], v[76:77], s[0:1], -v[62:63]
	v_mul_f64 v[112:113], v[100:101], s[20:21]
	v_add_f64 v[52:53], v[54:55], v[52:53]
	v_fma_f64 v[54:55], s[10:11], v[92:93], v[112:113]
	v_mul_f64 v[114:115], v[106:107], s[30:31]
	v_fmac_f64_e32 v[56:57], s[10:11], v[78:79]
	v_add_f64 v[54:55], v[0:1], v[54:55]
	v_fma_f64 v[116:117], s[18:19], v[80:81], v[114:115]
	v_fmac_f64_e32 v[58:59], s[18:19], v[72:73]
	v_add_f64 v[56:57], v[2:3], v[56:57]
	v_add_f64 v[54:55], v[116:117], v[54:55]
	v_mul_f64 v[116:117], v[102:103], s[28:29]
	v_add_f64 v[56:57], v[58:59], v[56:57]
	v_fmac_f64_e32 v[60:61], s[14:15], v[74:75]
	v_fma_f64 v[118:119], s[14:15], v[82:83], v[116:117]
	v_add_f64 v[56:57], v[60:61], v[56:57]
	v_fma_f64 v[60:61], v[92:93], s[10:11], -v[112:113]
	v_add_f64 v[54:55], v[118:119], v[54:55]
	v_mul_f64 v[118:119], v[104:105], s[16:17]
	v_fma_f64 v[58:59], v[80:81], s[18:19], -v[114:115]
	v_add_f64 v[60:61], v[0:1], v[60:61]
	v_fma_f64 v[120:121], s[0:1], v[84:85], v[118:119]
	v_mul_f64 v[122:123], v[108:109], s[22:23]
	v_fmac_f64_e32 v[62:63], s[0:1], v[76:77]
	v_add_f64 v[58:59], v[58:59], v[60:61]
	v_fma_f64 v[60:61], v[82:83], s[14:15], -v[116:117]
	v_add_f64 v[120:121], v[120:121], v[54:55]
	v_fma_f64 v[54:55], v[88:89], s[12:13], -v[122:123]
	v_mul_f64 v[124:125], v[110:111], s[22:23]
	v_add_f64 v[56:57], v[62:63], v[56:57]
	v_add_f64 v[58:59], v[60:61], v[58:59]
	v_fma_f64 v[60:61], v[84:85], s[0:1], -v[118:119]
	v_fmac_f64_e32 v[122:123], s[12:13], v[88:89]
	v_add_f64 v[60:61], v[60:61], v[58:59]
	v_add_f64 v[58:59], v[122:123], v[56:57]
	v_fma_f64 v[56:57], v[86:87], s[12:13], -v[124:125]
	s_mov_b32 s35, 0x3fd207e7
	s_mov_b32 s34, s16
	v_mul_f64 v[112:113], v[94:95], s[26:27]
	v_add_f64 v[56:57], v[56:57], v[60:61]
	v_fma_f64 v[60:61], v[78:79], s[18:19], -v[112:113]
	v_mul_f64 v[114:115], v[90:91], s[34:35]
	v_add_f64 v[60:61], v[2:3], v[60:61]
	v_fma_f64 v[62:63], v[72:73], s[0:1], -v[114:115]
	v_mul_f64 v[116:117], v[96:97], s[22:23]
	v_add_f64 v[54:55], v[54:55], v[52:53]
	v_fma_f64 v[52:53], s[12:13], v[86:87], v[124:125]
	v_add_f64 v[60:61], v[62:63], v[60:61]
	v_fma_f64 v[62:63], v[74:75], s[12:13], -v[116:117]
	v_mul_f64 v[118:119], v[98:99], s[28:29]
	v_add_f64 v[52:53], v[52:53], v[120:121]
	v_add_f64 v[60:61], v[62:63], v[60:61]
	v_fma_f64 v[62:63], v[76:77], s[14:15], -v[118:119]
	v_mul_f64 v[120:121], v[100:101], s[26:27]
	v_add_f64 v[60:61], v[62:63], v[60:61]
	v_fma_f64 v[62:63], s[18:19], v[92:93], v[120:121]
	v_mul_f64 v[122:123], v[106:107], s[34:35]
	v_fmac_f64_e32 v[112:113], s[18:19], v[78:79]
	v_add_f64 v[62:63], v[0:1], v[62:63]
	v_fma_f64 v[124:125], s[0:1], v[80:81], v[122:123]
	v_fmac_f64_e32 v[114:115], s[0:1], v[72:73]
	v_add_f64 v[112:113], v[2:3], v[112:113]
	v_add_f64 v[62:63], v[124:125], v[62:63]
	v_mul_f64 v[124:125], v[102:103], s[22:23]
	v_add_f64 v[112:113], v[114:115], v[112:113]
	v_fmac_f64_e32 v[116:117], s[12:13], v[74:75]
	v_fma_f64 v[126:127], s[12:13], v[82:83], v[124:125]
	v_add_f64 v[112:113], v[116:117], v[112:113]
	v_fma_f64 v[116:117], v[92:93], s[18:19], -v[120:121]
	v_add_f64 v[62:63], v[126:127], v[62:63]
	v_mul_f64 v[126:127], v[104:105], s[28:29]
	v_fma_f64 v[114:115], v[80:81], s[0:1], -v[122:123]
	v_add_f64 v[116:117], v[0:1], v[116:117]
	v_fma_f64 v[128:129], s[14:15], v[84:85], v[126:127]
	v_mul_f64 v[130:131], v[108:109], s[20:21]
	v_fmac_f64_e32 v[118:119], s[14:15], v[76:77]
	v_add_f64 v[114:115], v[114:115], v[116:117]
	v_fma_f64 v[116:117], v[82:83], s[12:13], -v[124:125]
	v_add_f64 v[128:129], v[128:129], v[62:63]
	v_fma_f64 v[62:63], v[88:89], s[10:11], -v[130:131]
	v_mul_f64 v[132:133], v[110:111], s[20:21]
	v_add_f64 v[112:113], v[118:119], v[112:113]
	v_add_f64 v[114:115], v[116:117], v[114:115]
	v_fma_f64 v[116:117], v[84:85], s[14:15], -v[126:127]
	v_fmac_f64_e32 v[130:131], s[10:11], v[88:89]
	s_mov_b32 s23, 0xbfed1bb4
	v_add_f64 v[116:117], v[116:117], v[114:115]
	v_add_f64 v[114:115], v[130:131], v[112:113]
	v_fma_f64 v[112:113], v[86:87], s[10:11], -v[132:133]
	v_mul_f64 v[120:121], v[94:95], s[22:23]
	v_add_f64 v[112:113], v[112:113], v[116:117]
	v_fma_f64 v[116:117], v[78:79], s[12:13], -v[120:121]
	v_mul_f64 v[122:123], v[90:91], s[20:21]
	;; [unrolled: 3-line block ×3, first 2 shown]
	v_add_f64 v[62:63], v[62:63], v[60:61]
	v_fma_f64 v[60:61], s[10:11], v[86:87], v[132:133]
	v_add_f64 v[116:117], v[118:119], v[116:117]
	v_fma_f64 v[118:119], v[74:75], s[0:1], -v[124:125]
	v_mul_f64 v[126:127], v[98:99], s[30:31]
	v_add_f64 v[60:61], v[60:61], v[128:129]
	v_add_f64 v[116:117], v[118:119], v[116:117]
	v_fma_f64 v[118:119], v[76:77], s[18:19], -v[126:127]
	v_mul_f64 v[128:129], v[100:101], s[22:23]
	v_add_f64 v[116:117], v[118:119], v[116:117]
	v_fma_f64 v[118:119], s[12:13], v[92:93], v[128:129]
	v_mul_f64 v[130:131], v[106:107], s[20:21]
	v_fmac_f64_e32 v[120:121], s[12:13], v[78:79]
	v_add_f64 v[118:119], v[0:1], v[118:119]
	v_fma_f64 v[132:133], s[10:11], v[80:81], v[130:131]
	v_fmac_f64_e32 v[122:123], s[10:11], v[72:73]
	v_add_f64 v[120:121], v[2:3], v[120:121]
	v_add_f64 v[118:119], v[132:133], v[118:119]
	v_mul_f64 v[132:133], v[102:103], s[34:35]
	v_add_f64 v[120:121], v[122:123], v[120:121]
	v_fmac_f64_e32 v[124:125], s[0:1], v[74:75]
	v_fma_f64 v[134:135], s[0:1], v[82:83], v[132:133]
	v_add_f64 v[120:121], v[124:125], v[120:121]
	v_fma_f64 v[124:125], v[92:93], s[12:13], -v[128:129]
	v_add_f64 v[118:119], v[134:135], v[118:119]
	v_mul_f64 v[134:135], v[104:105], s[30:31]
	v_fma_f64 v[122:123], v[80:81], s[10:11], -v[130:131]
	v_add_f64 v[124:125], v[0:1], v[124:125]
	v_fma_f64 v[136:137], s[18:19], v[84:85], v[134:135]
	v_mul_f64 v[138:139], v[108:109], s[24:25]
	v_fmac_f64_e32 v[126:127], s[18:19], v[76:77]
	v_add_f64 v[122:123], v[122:123], v[124:125]
	v_fma_f64 v[124:125], v[82:83], s[0:1], -v[132:133]
	v_add_f64 v[136:137], v[136:137], v[118:119]
	v_fma_f64 v[118:119], v[88:89], s[14:15], -v[138:139]
	v_mul_f64 v[140:141], v[110:111], s[24:25]
	v_add_f64 v[120:121], v[126:127], v[120:121]
	v_add_f64 v[122:123], v[124:125], v[122:123]
	v_fma_f64 v[124:125], v[84:85], s[18:19], -v[134:135]
	v_fmac_f64_e32 v[138:139], s[14:15], v[88:89]
	v_add_f64 v[124:125], v[124:125], v[122:123]
	v_add_f64 v[122:123], v[138:139], v[120:121]
	v_fma_f64 v[120:121], v[86:87], s[14:15], -v[140:141]
	v_add_f64 v[120:121], v[120:121], v[124:125]
	v_mul_f64 v[124:125], v[94:95], s[28:29]
	v_mul_f64 v[90:91], v[90:91], s[22:23]
	v_fma_f64 v[94:95], v[78:79], s[14:15], -v[124:125]
	v_add_f64 v[94:95], v[2:3], v[94:95]
	v_fma_f64 v[126:127], v[72:73], s[12:13], -v[90:91]
	v_add_f64 v[94:95], v[126:127], v[94:95]
	v_mul_f64 v[126:127], v[96:97], s[26:27]
	v_add_f64 v[10:11], v[10:11], v[2:3]
	v_add_f64 v[8:9], v[8:9], v[0:1]
	v_fma_f64 v[96:97], v[74:75], s[18:19], -v[126:127]
	v_mul_f64 v[98:99], v[98:99], s[20:21]
	v_add_f64 v[6:7], v[6:7], v[10:11]
	v_add_f64 v[4:5], v[4:5], v[8:9]
	;; [unrolled: 1-line block ×3, first 2 shown]
	v_fma_f64 v[96:97], v[76:77], s[10:11], -v[98:99]
	v_mul_f64 v[100:101], v[100:101], s[28:29]
	v_add_f64 v[6:7], v[14:15], v[6:7]
	v_add_f64 v[4:5], v[12:13], v[4:5]
	;; [unrolled: 1-line block ×3, first 2 shown]
	v_mul_f64 v[106:107], v[106:107], s[22:23]
	v_fma_f64 v[96:97], s[14:15], v[92:93], v[100:101]
	v_add_f64 v[6:7], v[18:19], v[6:7]
	v_add_f64 v[4:5], v[16:17], v[4:5]
	;; [unrolled: 1-line block ×3, first 2 shown]
	v_fma_f64 v[128:129], s[12:13], v[80:81], v[106:107]
	v_mul_f64 v[102:103], v[102:103], s[26:27]
	v_add_f64 v[6:7], v[22:23], v[6:7]
	v_add_f64 v[4:5], v[20:21], v[4:5]
	v_add_f64 v[96:97], v[128:129], v[96:97]
	v_fma_f64 v[128:129], s[18:19], v[82:83], v[102:103]
	v_mul_f64 v[104:105], v[104:105], s[20:21]
	v_fmac_f64_e32 v[124:125], s[14:15], v[78:79]
	v_fma_f64 v[78:79], v[92:93], s[14:15], -v[100:101]
	v_add_f64 v[6:7], v[26:27], v[6:7]
	v_add_f64 v[4:5], v[24:25], v[4:5]
	;; [unrolled: 1-line block ×3, first 2 shown]
	v_fma_f64 v[128:129], s[10:11], v[84:85], v[104:105]
	v_mul_f64 v[108:109], v[108:109], s[16:17]
	v_add_f64 v[2:3], v[2:3], v[124:125]
	v_add_f64 v[0:1], v[0:1], v[78:79]
	v_fmac_f64_e32 v[90:91], s[12:13], v[72:73]
	v_fma_f64 v[78:79], v[80:81], s[12:13], -v[106:107]
	v_add_f64 v[6:7], v[30:31], v[6:7]
	v_add_f64 v[4:5], v[28:29], v[4:5]
	;; [unrolled: 1-line block ×3, first 2 shown]
	v_fma_f64 v[96:97], v[88:89], s[0:1], -v[108:109]
	v_mul_f64 v[110:111], v[110:111], s[16:17]
	v_fmac_f64_e32 v[98:99], s[10:11], v[76:77]
	v_fmac_f64_e32 v[126:127], s[18:19], v[74:75]
	v_add_f64 v[2:3], v[90:91], v[2:3]
	v_fma_f64 v[76:77], v[82:83], s[18:19], -v[102:103]
	v_add_f64 v[0:1], v[78:79], v[0:1]
	v_add_f64 v[6:7], v[34:35], v[6:7]
	;; [unrolled: 1-line block ×4, first 2 shown]
	v_fma_f64 v[94:95], s[0:1], v[86:87], v[110:111]
	v_fmac_f64_e32 v[108:109], s[0:1], v[88:89]
	v_add_f64 v[2:3], v[126:127], v[2:3]
	v_fma_f64 v[72:73], v[86:87], s[0:1], -v[110:111]
	v_fma_f64 v[74:75], v[84:85], s[10:11], -v[104:105]
	v_add_f64 v[0:1], v[76:77], v[0:1]
	v_add_f64 v[6:7], v[38:39], v[6:7]
	;; [unrolled: 1-line block ×3, first 2 shown]
	s_movk_i32 s0, 0xb0
	v_add_f64 v[118:119], v[118:119], v[116:117]
	v_fma_f64 v[116:117], s[14:15], v[86:87], v[140:141]
	v_add_f64 v[2:3], v[98:99], v[2:3]
	v_add_f64 v[0:1], v[74:75], v[0:1]
	;; [unrolled: 1-line block ×4, first 2 shown]
	v_mad_u32_u24 v8, v70, s0, 0
	v_add_f64 v[116:117], v[116:117], v[136:137]
	v_add_f64 v[94:95], v[94:95], v[128:129]
	;; [unrolled: 1-line block ×4, first 2 shown]
	ds_write_b128 v8, v[4:7]
	ds_write_b128 v8, v[0:3] offset:16
	ds_write_b128 v8, v[120:123] offset:32
	;; [unrolled: 1-line block ×10, first 2 shown]
.LBB0_15:
	s_or_b64 exec, exec, s[4:5]
	s_movk_i32 s0, 0x75
	s_waitcnt vmcnt(10)
	v_mul_lo_u16_sdwa v0, v70, s0 dst_sel:DWORD dst_unused:UNUSED_PAD src0_sel:BYTE_0 src1_sel:DWORD
	v_sub_u16_sdwa v1, v70, v0 dst_sel:DWORD dst_unused:UNUSED_PAD src0_sel:DWORD src1_sel:BYTE_1
	v_lshrrev_b16_e32 v1, 1, v1
	v_and_b32_e32 v1, 0x7f, v1
	v_add_u16_sdwa v0, v1, v0 dst_sel:DWORD dst_unused:UNUSED_PAD src0_sel:DWORD src1_sel:BYTE_1
	v_lshrrev_b16_e32 v3, 3, v0
	v_mul_lo_u16_e32 v0, 11, v3
	v_sub_u16_e32 v56, v70, v0
	v_mov_b32_e32 v0, 6
	v_lshlrev_b32_sdwa v0, v0, v56 dst_sel:DWORD dst_unused:UNUSED_PAD src0_sel:DWORD src1_sel:BYTE_0
	s_waitcnt lgkmcnt(0)
	; wave barrier
	s_waitcnt lgkmcnt(0)
	global_load_dwordx4 v[4:7], v0, s[8:9]
	global_load_dwordx4 v[8:11], v0, s[8:9] offset:16
	global_load_dwordx4 v[12:15], v0, s[8:9] offset:32
	;; [unrolled: 1-line block ×3, first 2 shown]
	v_lshl_add_u32 v2, v70, 4, 0
	s_waitcnt vmcnt(9)
	ds_read_b128 v[20:23], v2
	s_waitcnt vmcnt(8)
	ds_read_b128 v[24:27], v2 offset:880
	s_waitcnt vmcnt(7)
	ds_read_b128 v[28:31], v2 offset:1760
	;; [unrolled: 2-line block ×4, first 2 shown]
	s_mov_b32 s10, 0x134454ff
	s_mov_b32 s11, 0x3fee6f0e
	s_mov_b32 s0, 0x4755a5e
	s_mov_b32 s15, 0xbfee6f0e
	s_mov_b32 s14, s10
	s_mov_b32 s1, 0x3fe2cf23
	s_mov_b32 s13, 0xbfe2cf23
	s_mov_b32 s12, s0
	s_mov_b32 s4, 0x372fe950
	s_mov_b32 s5, 0x3fd3c6ef
	s_waitcnt lgkmcnt(0)
	; wave barrier
	s_waitcnt vmcnt(3) lgkmcnt(0)
	v_mul_f64 v[0:1], v[26:27], v[6:7]
	v_mul_f64 v[40:41], v[24:25], v[6:7]
	s_waitcnt vmcnt(2)
	v_mul_f64 v[42:43], v[28:29], v[10:11]
	s_waitcnt vmcnt(1)
	;; [unrolled: 2-line block ×3, first 2 shown]
	v_mul_f64 v[46:47], v[36:37], v[18:19]
	v_mul_f64 v[6:7], v[30:31], v[10:11]
	;; [unrolled: 1-line block ×4, first 2 shown]
	v_fma_f64 v[0:1], v[24:25], v[4:5], -v[0:1]
	v_fmac_f64_e32 v[40:41], v[26:27], v[4:5]
	v_fmac_f64_e32 v[42:43], v[30:31], v[8:9]
	;; [unrolled: 1-line block ×4, first 2 shown]
	v_fma_f64 v[4:5], v[28:29], v[8:9], -v[6:7]
	v_fma_f64 v[8:9], v[32:33], v[12:13], -v[10:11]
	;; [unrolled: 1-line block ×3, first 2 shown]
	v_add_f64 v[6:7], v[20:21], v[0:1]
	v_add_f64 v[34:35], v[42:43], v[44:45]
	;; [unrolled: 1-line block ×4, first 2 shown]
	v_add_f64 v[12:13], v[0:1], -v[4:5]
	v_add_f64 v[14:15], v[18:19], -v[8:9]
	v_add_f64 v[16:17], v[0:1], v[18:19]
	v_add_f64 v[32:33], v[22:23], v[40:41]
	v_add_f64 v[36:37], v[4:5], -v[8:9]
	v_add_f64 v[52:53], v[6:7], v[4:5]
	v_fma_f64 v[6:7], -0.5, v[34:35], v[22:23]
	v_fmac_f64_e32 v[22:23], -0.5, v[50:51]
	v_add_f64 v[24:25], v[40:41], -v[46:47]
	v_add_f64 v[26:27], v[42:43], -v[44:45]
	;; [unrolled: 1-line block ×4, first 2 shown]
	v_fma_f64 v[4:5], -0.5, v[10:11], v[20:21]
	v_add_f64 v[54:55], v[12:13], v[14:15]
	v_fmac_f64_e32 v[20:21], -0.5, v[16:17]
	v_add_f64 v[10:11], v[32:33], v[42:43]
	v_fma_f64 v[14:15], s[10:11], v[36:37], v[22:23]
	v_fmac_f64_e32 v[22:23], s[14:15], v[36:37]
	v_add_f64 v[30:31], v[8:9], -v[18:19]
	v_add_f64 v[16:17], v[52:53], v[8:9]
	v_fma_f64 v[8:9], s[10:11], v[24:25], v[4:5]
	v_fmac_f64_e32 v[4:5], s[14:15], v[24:25]
	v_fma_f64 v[12:13], s[14:15], v[26:27], v[20:21]
	v_fmac_f64_e32 v[20:21], s[10:11], v[26:27]
	v_add_f64 v[32:33], v[10:11], v[44:45]
	v_fma_f64 v[10:11], s[14:15], v[0:1], v[6:7]
	v_fmac_f64_e32 v[6:7], s[10:11], v[0:1]
	v_fmac_f64_e32 v[14:15], s[12:13], v[0:1]
	;; [unrolled: 1-line block ×3, first 2 shown]
	v_mov_b32_e32 v1, 4
	v_add_f64 v[38:39], v[40:41], -v[42:43]
	v_add_f64 v[48:49], v[46:47], -v[44:45]
	v_fmac_f64_e32 v[8:9], s[0:1], v[26:27]
	v_fmac_f64_e32 v[4:5], s[12:13], v[26:27]
	;; [unrolled: 1-line block ×4, first 2 shown]
	v_add_f64 v[24:25], v[42:43], -v[40:41]
	v_add_f64 v[26:27], v[44:45], -v[46:47]
	v_mul_u32_u24_e32 v0, 0x370, v3
	v_lshlrev_b32_sdwa v1, v1, v56 dst_sel:DWORD dst_unused:UNUSED_PAD src0_sel:DWORD src1_sel:BYTE_0
	v_add_f64 v[28:29], v[28:29], v[30:31]
	v_add_f64 v[30:31], v[38:39], v[48:49]
	;; [unrolled: 1-line block ×4, first 2 shown]
	v_fmac_f64_e32 v[10:11], s[12:13], v[36:37]
	v_fmac_f64_e32 v[6:7], s[0:1], v[36:37]
	v_add_f64 v[24:25], v[24:25], v[26:27]
	v_add3_u32 v0, 0, v0, v1
	v_fmac_f64_e32 v[8:9], s[4:5], v[54:55]
	v_fmac_f64_e32 v[4:5], s[4:5], v[54:55]
	;; [unrolled: 1-line block ×8, first 2 shown]
	ds_write_b128 v0, v[16:19]
	ds_write_b128 v0, v[8:11] offset:176
	ds_write_b128 v0, v[12:15] offset:352
	;; [unrolled: 1-line block ×4, first 2 shown]
	s_waitcnt lgkmcnt(0)
	; wave barrier
	s_waitcnt lgkmcnt(0)
	s_and_saveexec_b64 s[16:17], vcc
	s_cbranch_execz .LBB0_17
; %bb.16:
	v_lshlrev_b32_e32 v0, 2, v70
	v_mov_b32_e32 v1, 0
	v_lshl_add_u64 v[20:21], v[0:1], 4, s[8:9]
	global_load_dwordx4 v[4:7], v[20:21], off offset:720
	global_load_dwordx4 v[8:11], v[20:21], off offset:704
	global_load_dwordx4 v[12:15], v[20:21], off offset:736
	global_load_dwordx4 v[16:19], v[20:21], off offset:752
	ds_read_b128 v[20:23], v2 offset:1760
	ds_read_b128 v[24:27], v2 offset:2640
	;; [unrolled: 1-line block ×4, first 2 shown]
	ds_read_b128 v[36:39], v2
	v_mul_lo_u32 v0, s3, v66
	v_mul_lo_u32 v3, s2, v67
	v_mad_u64_u32 v[40:41], s[2:3], s2, v66, 0
	v_add3_u32 v41, v41, v3, v0
	v_mov_b32_e32 v69, v1
	v_lshl_add_u64 v[0:1], v[40:41], 4, s[6:7]
	v_lshl_add_u64 v[0:1], v[64:65], 4, v[0:1]
	;; [unrolled: 1-line block ×3, first 2 shown]
	s_waitcnt vmcnt(3) lgkmcnt(4)
	v_mul_f64 v[2:3], v[4:5], v[22:23]
	s_waitcnt vmcnt(2) lgkmcnt(2)
	v_mul_f64 v[42:43], v[8:9], v[30:31]
	s_waitcnt vmcnt(1)
	v_mul_f64 v[44:45], v[12:13], v[26:27]
	s_waitcnt vmcnt(0) lgkmcnt(1)
	v_mul_f64 v[46:47], v[16:17], v[34:35]
	v_mul_f64 v[30:31], v[10:11], v[30:31]
	;; [unrolled: 1-line block ×5, first 2 shown]
	v_fmac_f64_e32 v[2:3], v[6:7], v[20:21]
	v_fmac_f64_e32 v[42:43], v[10:11], v[28:29]
	;; [unrolled: 1-line block ×4, first 2 shown]
	v_fma_f64 v[6:7], v[28:29], v[8:9], -v[30:31]
	v_fma_f64 v[18:19], v[32:33], v[16:17], -v[34:35]
	;; [unrolled: 1-line block ×4, first 2 shown]
	v_add_f64 v[4:5], v[2:3], -v[42:43]
	v_add_f64 v[8:9], v[44:45], -v[46:47]
	v_add_f64 v[12:13], v[42:43], v[46:47]
	v_add_f64 v[14:15], v[42:43], -v[2:3]
	v_add_f64 v[16:17], v[46:47], -v[44:45]
	v_add_f64 v[26:27], v[2:3], v[44:45]
	s_waitcnt lgkmcnt(0)
	v_add_f64 v[28:29], v[42:43], v[38:39]
	v_add_f64 v[30:31], v[10:11], -v[6:7]
	v_add_f64 v[32:33], v[20:21], -v[18:19]
	v_add_f64 v[48:49], v[6:7], v[18:19]
	v_add_f64 v[54:55], v[10:11], v[20:21]
	;; [unrolled: 1-line block ×3, first 2 shown]
	v_add_f64 v[22:23], v[6:7], -v[18:19]
	v_add_f64 v[24:25], v[10:11], -v[20:21]
	;; [unrolled: 1-line block ×5, first 2 shown]
	v_add_f64 v[58:59], v[4:5], v[8:9]
	v_fma_f64 v[4:5], -0.5, v[12:13], v[38:39]
	v_add_f64 v[60:61], v[14:15], v[16:17]
	v_fma_f64 v[8:9], -0.5, v[26:27], v[38:39]
	v_add_f64 v[14:15], v[2:3], v[28:29]
	v_add_f64 v[26:27], v[30:31], v[32:33]
	v_fma_f64 v[2:3], -0.5, v[48:49], v[36:37]
	v_fma_f64 v[6:7], -0.5, v[54:55], v[36:37]
	v_add_f64 v[30:31], v[10:11], v[56:57]
	v_add_f64 v[52:53], v[18:19], -v[20:21]
	v_fma_f64 v[12:13], s[14:15], v[24:25], v[4:5]
	v_fmac_f64_e32 v[4:5], s[10:11], v[24:25]
	v_fma_f64 v[16:17], s[10:11], v[22:23], v[8:9]
	v_fmac_f64_e32 v[8:9], s[14:15], v[22:23]
	v_add_f64 v[32:33], v[44:45], v[14:15]
	v_fma_f64 v[10:11], s[10:11], v[34:35], v[2:3]
	v_fmac_f64_e32 v[2:3], s[14:15], v[34:35]
	v_fma_f64 v[14:15], s[14:15], v[42:43], v[6:7]
	v_fmac_f64_e32 v[6:7], s[10:11], v[42:43]
	v_add_f64 v[30:31], v[20:21], v[30:31]
	v_add_f64 v[28:29], v[50:51], v[52:53]
	v_fmac_f64_e32 v[12:13], s[0:1], v[22:23]
	v_fmac_f64_e32 v[4:5], s[12:13], v[22:23]
	v_fmac_f64_e32 v[16:17], s[0:1], v[24:25]
	v_fmac_f64_e32 v[8:9], s[12:13], v[24:25]
	v_add_f64 v[20:21], v[46:47], v[32:33]
	v_fmac_f64_e32 v[10:11], s[12:13], v[42:43]
	v_fmac_f64_e32 v[2:3], s[0:1], v[42:43]
	v_fmac_f64_e32 v[14:15], s[12:13], v[34:35]
	v_fmac_f64_e32 v[6:7], s[0:1], v[34:35]
	v_add_f64 v[18:19], v[18:19], v[30:31]
	v_fmac_f64_e32 v[12:13], s[4:5], v[58:59]
	v_fmac_f64_e32 v[4:5], s[4:5], v[58:59]
	v_fmac_f64_e32 v[16:17], s[4:5], v[60:61]
	v_fmac_f64_e32 v[8:9], s[4:5], v[60:61]
	v_fmac_f64_e32 v[10:11], s[4:5], v[26:27]
	v_fmac_f64_e32 v[2:3], s[4:5], v[26:27]
	;; [unrolled: 1-line block ×4, first 2 shown]
	global_store_dwordx4 v[0:1], v[18:21], off
	global_store_dwordx4 v[0:1], v[6:9], off offset:880
	global_store_dwordx4 v[0:1], v[2:5], off offset:1760
	;; [unrolled: 1-line block ×4, first 2 shown]
.LBB0_17:
	s_endpgm
	.section	.rodata,"a",@progbits
	.p2align	6, 0x0
	.amdhsa_kernel fft_rtc_fwd_len275_factors_11_5_5_wgs_55_tpt_55_dp_op_CI_CI_unitstride_sbrr_dirReg
		.amdhsa_group_segment_fixed_size 0
		.amdhsa_private_segment_fixed_size 0
		.amdhsa_kernarg_size 104
		.amdhsa_user_sgpr_count 2
		.amdhsa_user_sgpr_dispatch_ptr 0
		.amdhsa_user_sgpr_queue_ptr 0
		.amdhsa_user_sgpr_kernarg_segment_ptr 1
		.amdhsa_user_sgpr_dispatch_id 0
		.amdhsa_user_sgpr_kernarg_preload_length 0
		.amdhsa_user_sgpr_kernarg_preload_offset 0
		.amdhsa_user_sgpr_private_segment_size 0
		.amdhsa_uses_dynamic_stack 0
		.amdhsa_enable_private_segment 0
		.amdhsa_system_sgpr_workgroup_id_x 1
		.amdhsa_system_sgpr_workgroup_id_y 0
		.amdhsa_system_sgpr_workgroup_id_z 0
		.amdhsa_system_sgpr_workgroup_info 0
		.amdhsa_system_vgpr_workitem_id 0
		.amdhsa_next_free_vgpr 142
		.amdhsa_next_free_sgpr 36
		.amdhsa_accum_offset 144
		.amdhsa_reserve_vcc 1
		.amdhsa_float_round_mode_32 0
		.amdhsa_float_round_mode_16_64 0
		.amdhsa_float_denorm_mode_32 3
		.amdhsa_float_denorm_mode_16_64 3
		.amdhsa_dx10_clamp 1
		.amdhsa_ieee_mode 1
		.amdhsa_fp16_overflow 0
		.amdhsa_tg_split 0
		.amdhsa_exception_fp_ieee_invalid_op 0
		.amdhsa_exception_fp_denorm_src 0
		.amdhsa_exception_fp_ieee_div_zero 0
		.amdhsa_exception_fp_ieee_overflow 0
		.amdhsa_exception_fp_ieee_underflow 0
		.amdhsa_exception_fp_ieee_inexact 0
		.amdhsa_exception_int_div_zero 0
	.end_amdhsa_kernel
	.text
.Lfunc_end0:
	.size	fft_rtc_fwd_len275_factors_11_5_5_wgs_55_tpt_55_dp_op_CI_CI_unitstride_sbrr_dirReg, .Lfunc_end0-fft_rtc_fwd_len275_factors_11_5_5_wgs_55_tpt_55_dp_op_CI_CI_unitstride_sbrr_dirReg
                                        ; -- End function
	.section	.AMDGPU.csdata,"",@progbits
; Kernel info:
; codeLenInByte = 5484
; NumSgprs: 42
; NumVgprs: 142
; NumAgprs: 0
; TotalNumVgprs: 142
; ScratchSize: 0
; MemoryBound: 1
; FloatMode: 240
; IeeeMode: 1
; LDSByteSize: 0 bytes/workgroup (compile time only)
; SGPRBlocks: 5
; VGPRBlocks: 17
; NumSGPRsForWavesPerEU: 42
; NumVGPRsForWavesPerEU: 142
; AccumOffset: 144
; Occupancy: 3
; WaveLimiterHint : 1
; COMPUTE_PGM_RSRC2:SCRATCH_EN: 0
; COMPUTE_PGM_RSRC2:USER_SGPR: 2
; COMPUTE_PGM_RSRC2:TRAP_HANDLER: 0
; COMPUTE_PGM_RSRC2:TGID_X_EN: 1
; COMPUTE_PGM_RSRC2:TGID_Y_EN: 0
; COMPUTE_PGM_RSRC2:TGID_Z_EN: 0
; COMPUTE_PGM_RSRC2:TIDIG_COMP_CNT: 0
; COMPUTE_PGM_RSRC3_GFX90A:ACCUM_OFFSET: 35
; COMPUTE_PGM_RSRC3_GFX90A:TG_SPLIT: 0
	.text
	.p2alignl 6, 3212836864
	.fill 256, 4, 3212836864
	.type	__hip_cuid_31a82d8feb4539b,@object ; @__hip_cuid_31a82d8feb4539b
	.section	.bss,"aw",@nobits
	.globl	__hip_cuid_31a82d8feb4539b
__hip_cuid_31a82d8feb4539b:
	.byte	0                               ; 0x0
	.size	__hip_cuid_31a82d8feb4539b, 1

	.ident	"AMD clang version 19.0.0git (https://github.com/RadeonOpenCompute/llvm-project roc-6.4.0 25133 c7fe45cf4b819c5991fe208aaa96edf142730f1d)"
	.section	".note.GNU-stack","",@progbits
	.addrsig
	.addrsig_sym __hip_cuid_31a82d8feb4539b
	.amdgpu_metadata
---
amdhsa.kernels:
  - .agpr_count:     0
    .args:
      - .actual_access:  read_only
        .address_space:  global
        .offset:         0
        .size:           8
        .value_kind:     global_buffer
      - .offset:         8
        .size:           8
        .value_kind:     by_value
      - .actual_access:  read_only
        .address_space:  global
        .offset:         16
        .size:           8
        .value_kind:     global_buffer
      - .actual_access:  read_only
        .address_space:  global
        .offset:         24
        .size:           8
        .value_kind:     global_buffer
      - .actual_access:  read_only
        .address_space:  global
        .offset:         32
        .size:           8
        .value_kind:     global_buffer
      - .offset:         40
        .size:           8
        .value_kind:     by_value
      - .actual_access:  read_only
        .address_space:  global
        .offset:         48
        .size:           8
        .value_kind:     global_buffer
      - .actual_access:  read_only
        .address_space:  global
        .offset:         56
        .size:           8
        .value_kind:     global_buffer
      - .offset:         64
        .size:           4
        .value_kind:     by_value
      - .actual_access:  read_only
        .address_space:  global
        .offset:         72
        .size:           8
        .value_kind:     global_buffer
      - .actual_access:  read_only
        .address_space:  global
        .offset:         80
        .size:           8
        .value_kind:     global_buffer
      - .actual_access:  read_only
        .address_space:  global
        .offset:         88
        .size:           8
        .value_kind:     global_buffer
      - .actual_access:  write_only
        .address_space:  global
        .offset:         96
        .size:           8
        .value_kind:     global_buffer
    .group_segment_fixed_size: 0
    .kernarg_segment_align: 8
    .kernarg_segment_size: 104
    .language:       OpenCL C
    .language_version:
      - 2
      - 0
    .max_flat_workgroup_size: 55
    .name:           fft_rtc_fwd_len275_factors_11_5_5_wgs_55_tpt_55_dp_op_CI_CI_unitstride_sbrr_dirReg
    .private_segment_fixed_size: 0
    .sgpr_count:     42
    .sgpr_spill_count: 0
    .symbol:         fft_rtc_fwd_len275_factors_11_5_5_wgs_55_tpt_55_dp_op_CI_CI_unitstride_sbrr_dirReg.kd
    .uniform_work_group_size: 1
    .uses_dynamic_stack: false
    .vgpr_count:     142
    .vgpr_spill_count: 0
    .wavefront_size: 64
amdhsa.target:   amdgcn-amd-amdhsa--gfx950
amdhsa.version:
  - 1
  - 2
...

	.end_amdgpu_metadata
